;; amdgpu-corpus repo=LLNL/RAJAPerf kind=compiled arch=gfx1250 opt=O3
	.amdgcn_target "amdgcn-amd-amdhsa--gfx1250"
	.amdhsa_code_object_version 6
	.section	.text._ZN8rajaperf4apps9matvec_3dILm256EEEvPdS2_S2_S2_S2_S2_S2_S2_S2_S2_S2_S2_S2_S2_S2_S2_S2_S2_S2_S2_S2_S2_S2_S2_S2_S2_S2_S2_S2_S2_S2_S2_S2_S2_S2_S2_S2_S2_S2_S2_S2_S2_S2_S2_S2_S2_S2_S2_S2_S2_S2_S2_S2_S2_S2_Plll,"axG",@progbits,_ZN8rajaperf4apps9matvec_3dILm256EEEvPdS2_S2_S2_S2_S2_S2_S2_S2_S2_S2_S2_S2_S2_S2_S2_S2_S2_S2_S2_S2_S2_S2_S2_S2_S2_S2_S2_S2_S2_S2_S2_S2_S2_S2_S2_S2_S2_S2_S2_S2_S2_S2_S2_S2_S2_S2_S2_S2_S2_S2_S2_S2_S2_S2_Plll,comdat
	.protected	_ZN8rajaperf4apps9matvec_3dILm256EEEvPdS2_S2_S2_S2_S2_S2_S2_S2_S2_S2_S2_S2_S2_S2_S2_S2_S2_S2_S2_S2_S2_S2_S2_S2_S2_S2_S2_S2_S2_S2_S2_S2_S2_S2_S2_S2_S2_S2_S2_S2_S2_S2_S2_S2_S2_S2_S2_S2_S2_S2_S2_S2_S2_S2_Plll ; -- Begin function _ZN8rajaperf4apps9matvec_3dILm256EEEvPdS2_S2_S2_S2_S2_S2_S2_S2_S2_S2_S2_S2_S2_S2_S2_S2_S2_S2_S2_S2_S2_S2_S2_S2_S2_S2_S2_S2_S2_S2_S2_S2_S2_S2_S2_S2_S2_S2_S2_S2_S2_S2_S2_S2_S2_S2_S2_S2_S2_S2_S2_S2_S2_S2_Plll
	.globl	_ZN8rajaperf4apps9matvec_3dILm256EEEvPdS2_S2_S2_S2_S2_S2_S2_S2_S2_S2_S2_S2_S2_S2_S2_S2_S2_S2_S2_S2_S2_S2_S2_S2_S2_S2_S2_S2_S2_S2_S2_S2_S2_S2_S2_S2_S2_S2_S2_S2_S2_S2_S2_S2_S2_S2_S2_S2_S2_S2_S2_S2_S2_S2_Plll
	.p2align	8
	.type	_ZN8rajaperf4apps9matvec_3dILm256EEEvPdS2_S2_S2_S2_S2_S2_S2_S2_S2_S2_S2_S2_S2_S2_S2_S2_S2_S2_S2_S2_S2_S2_S2_S2_S2_S2_S2_S2_S2_S2_S2_S2_S2_S2_S2_S2_S2_S2_S2_S2_S2_S2_S2_S2_S2_S2_S2_S2_S2_S2_S2_S2_S2_S2_Plll,@function
_ZN8rajaperf4apps9matvec_3dILm256EEEvPdS2_S2_S2_S2_S2_S2_S2_S2_S2_S2_S2_S2_S2_S2_S2_S2_S2_S2_S2_S2_S2_S2_S2_S2_S2_S2_S2_S2_S2_S2_S2_S2_S2_S2_S2_S2_S2_S2_S2_S2_S2_S2_S2_S2_S2_S2_S2_S2_S2_S2_S2_S2_S2_S2_Plll: ; @_ZN8rajaperf4apps9matvec_3dILm256EEEvPdS2_S2_S2_S2_S2_S2_S2_S2_S2_S2_S2_S2_S2_S2_S2_S2_S2_S2_S2_S2_S2_S2_S2_S2_S2_S2_S2_S2_S2_S2_S2_S2_S2_S2_S2_S2_S2_S2_S2_S2_S2_S2_S2_S2_S2_S2_S2_S2_S2_S2_S2_S2_S2_S2_Plll
; %bb.0:
	s_clause 0x1
	s_load_b32 s2, s[0:1], 0x1dc
	s_load_b128 s[4:7], s[0:1], 0x1c0
	s_bfe_u32 s3, ttmp6, 0x4000c
	s_and_b32 s8, ttmp6, 15
	s_add_co_i32 s3, s3, 1
	s_getreg_b32 s9, hwreg(HW_REG_IB_STS2, 6, 4)
	s_mul_i32 s3, ttmp9, s3
	v_mov_b32_e32 v1, 0
	s_add_co_i32 s8, s8, s3
	s_wait_kmcnt 0x0
	s_and_b32 s2, s2, 0xffff
	s_cmp_eq_u32 s9, 0
	s_cselect_b32 s3, ttmp9, s8
	s_delay_alu instid0(SALU_CYCLE_1) | instskip(SKIP_1) | instid1(VALU_DEP_1)
	v_mad_u32 v0, s3, s2, v0
	s_mov_b32 s2, exec_lo
	v_add_nc_u64_e32 v[2:3], s[4:5], v[0:1]
	s_delay_alu instid0(VALU_DEP_1)
	v_cmpx_gt_i64_e64 s[6:7], v[2:3]
	s_cbranch_execz .LBB0_2
; %bb.1:
	s_clause 0x1
	s_load_b512 s[4:19], s[0:1], 0x180
	s_load_b512 s[72:87], s[0:1], 0x100
	s_wait_kmcnt 0x0
	v_lshl_add_u64 v[0:1], v[0:1], 3, s[18:19]
	global_load_b64 v[0:1], v[0:1], off
	s_clause 0x1
	s_load_b512 s[52:67], s[0:1], 0xc0
	s_load_b512 s[36:51], s[0:1], 0x0
	s_wait_loadcnt 0x0
	v_lshlrev_b64_e32 v[0:1], 3, v[0:1]
	s_wait_kmcnt 0x0
	s_delay_alu instid0(VALU_DEP_1)
	v_add_nc_u64_e32 v[2:3], s[62:63], v[0:1]
	v_add_nc_u64_e32 v[4:5], s[40:41], v[0:1]
	global_load_b64 v[6:7], v[2:3], off
	global_load_b64 v[8:9], v[4:5], off
	s_wait_xcnt 0x1
	v_add_nc_u64_e32 v[2:3], s[60:61], v[0:1]
	s_wait_xcnt 0x0
	v_add_nc_u64_e32 v[4:5], s[38:39], v[0:1]
	global_load_b64 v[10:11], v[2:3], off
	global_load_b64 v[12:13], v[4:5], off
	s_wait_xcnt 0x1
	v_add_nc_u64_e32 v[2:3], s[64:65], v[0:1]
	s_wait_xcnt 0x0
	;; [unrolled: 6-line block ×6, first 2 shown]
	v_add_nc_u64_e32 v[4:5], s[50:51], v[0:1]
	global_load_b64 v[30:31], v[2:3], off
	global_load_b64 v[32:33], v[4:5], off
	s_load_b512 s[60:75], s[0:1], 0x40
	v_add_nc_u64_e32 v[2:3], s[78:79], v[0:1]
	s_wait_kmcnt 0x0
	v_add_nc_u64_e32 v[4:5], s[60:61], v[0:1]
	global_load_b64 v[34:35], v[2:3], off
	global_load_b64 v[36:37], v[4:5], off
	s_wait_xcnt 0x1
	v_add_nc_u64_e32 v[2:3], s[80:81], v[0:1]
	s_wait_xcnt 0x0
	v_add_nc_u64_e32 v[4:5], s[62:63], v[0:1]
	global_load_b64 v[38:39], v[2:3], off
	global_load_b64 v[40:41], v[4:5], off
	s_wait_xcnt 0x1
	v_add_nc_u64_e32 v[2:3], s[82:83], v[0:1]
	s_wait_xcnt 0x0
	;; [unrolled: 6-line block ×3, first 2 shown]
	v_add_nc_u64_e32 v[4:5], s[66:67], v[0:1]
	global_load_b64 v[46:47], v[2:3], off
	global_load_b64 v[48:49], v[4:5], off
	s_wait_xcnt 0x0
	v_add_nc_u64_e32 v[4:5], s[86:87], v[0:1]
	s_load_b512 s[76:91], s[0:1], 0x140
	s_wait_loadcnt 0x14
	v_mul_f64_e32 v[2:3], v[6:7], v[8:9]
	v_add_nc_u64_e32 v[6:7], s[68:69], v[0:1]
	global_load_b64 v[8:9], v[4:5], off
	global_load_b64 v[50:51], v[6:7], off
	s_wait_kmcnt 0x0
	v_add_nc_u64_e32 v[4:5], s[76:77], v[0:1]
	s_wait_xcnt 0x0
	v_add_nc_u64_e32 v[6:7], s[70:71], v[0:1]
	s_wait_loadcnt 0x14
	v_fmac_f64_e32 v[2:3], v[10:11], v[12:13]
	global_load_b64 v[10:11], v[4:5], off
	global_load_b64 v[12:13], v[6:7], off
	s_wait_xcnt 0x1
	v_add_nc_u64_e32 v[4:5], s[78:79], v[0:1]
	s_wait_xcnt 0x0
	v_add_nc_u64_e32 v[6:7], s[72:73], v[0:1]
	s_wait_loadcnt 0x14
	v_fmac_f64_e32 v[2:3], v[14:15], v[16:17]
	global_load_b64 v[14:15], v[4:5], off
	global_load_b64 v[16:17], v[6:7], off
	s_wait_xcnt 0x1
	v_add_nc_u64_e32 v[4:5], s[80:81], v[0:1]
	s_wait_xcnt 0x0
	v_add_nc_u64_e32 v[6:7], s[74:75], v[0:1]
	s_load_b512 s[60:75], s[0:1], 0x80
	s_wait_loadcnt 0x14
	v_fmac_f64_e32 v[2:3], v[18:19], v[20:21]
	global_load_b64 v[18:19], v[4:5], off
	global_load_b64 v[20:21], v[6:7], off
	s_wait_xcnt 0x1
	v_add_nc_u64_e32 v[4:5], s[82:83], v[0:1]
	s_wait_kmcnt 0x0
	v_add_nc_u64_e32 v[6:7], s[60:61], v[0:1]
	s_wait_loadcnt 0x14
	v_fmac_f64_e32 v[2:3], v[22:23], v[24:25]
	global_load_b64 v[22:23], v[4:5], off
	global_load_b64 v[24:25], v[6:7], off
	s_wait_xcnt 0x1
	v_add_nc_u64_e32 v[4:5], s[84:85], v[0:1]
	s_wait_xcnt 0x0
	v_add_nc_u64_e32 v[6:7], s[62:63], v[0:1]
	s_wait_loadcnt 0x14
	v_fmac_f64_e32 v[2:3], v[26:27], v[28:29]
	global_load_b64 v[26:27], v[4:5], off
	global_load_b64 v[28:29], v[6:7], off
	s_wait_xcnt 0x1
	v_add_nc_u64_e32 v[4:5], s[86:87], v[0:1]
	s_wait_xcnt 0x0
	v_add_nc_u64_e32 v[6:7], s[64:65], v[0:1]
	global_load_b64 v[4:5], v[4:5], off
	global_load_b64 v[6:7], v[6:7], off
	s_wait_loadcnt 0x16
	v_fmac_f64_e32 v[2:3], v[30:31], v[32:33]
	v_add_nc_u64_e32 v[30:31], s[88:89], v[0:1]
	v_add_nc_u64_e32 v[32:33], s[66:67], v[0:1]
	global_load_b64 v[30:31], v[30:31], off
	global_load_b64 v[32:33], v[32:33], off
	s_wait_loadcnt 0x16
	v_fmac_f64_e32 v[2:3], v[34:35], v[36:37]
	v_add_nc_u64_e32 v[34:35], s[90:91], v[0:1]
	;; [unrolled: 6-line block ×4, first 2 shown]
	v_add_nc_u64_e32 v[44:45], s[72:73], v[0:1]
	global_load_b64 v[42:43], v[42:43], off
	s_wait_loadcnt 0x15
	v_fmac_f64_e32 v[2:3], v[46:47], v[48:49]
	v_add_nc_u64_e32 v[46:47], s[74:75], v[0:1]
	s_wait_loadcnt 0x13
	s_delay_alu instid0(VALU_DEP_2)
	v_fmac_f64_e32 v[2:3], v[8:9], v[50:51]
	global_load_b64 v[8:9], v[44:45], off
	s_wait_xcnt 0x0
	v_add_nc_u64_e32 v[44:45], s[8:9], v[0:1]
	global_load_b64 v[44:45], v[44:45], off
	s_wait_loadcnt 0x13
	v_fmac_f64_e32 v[2:3], v[10:11], v[12:13]
	global_load_b64 v[10:11], v[46:47], off
	v_add_nc_u64_e32 v[12:13], s[10:11], v[0:1]
	s_wait_xcnt 0x0
	v_add_nc_u64_e32 v[46:47], s[52:53], v[0:1]
	global_load_b64 v[12:13], v[12:13], off
	s_wait_loadcnt 0x13
	v_fmac_f64_e32 v[2:3], v[14:15], v[16:17]
	global_load_b64 v[14:15], v[46:47], off
	v_add_nc_u64_e32 v[16:17], s[12:13], v[0:1]
	;; [unrolled: 7-line block ×4, first 2 shown]
	s_wait_xcnt 0x0
	v_add_nc_u64_e32 v[46:47], s[58:59], v[0:1]
	v_add_nc_u64_e32 v[0:1], s[36:37], v[0:1]
	global_load_b64 v[24:25], v[24:25], off
	s_wait_loadcnt 0x13
	v_fmac_f64_e32 v[2:3], v[26:27], v[28:29]
	global_load_b64 v[26:27], v[46:47], off
	s_wait_loadcnt 0x12
	v_fmac_f64_e32 v[2:3], v[4:5], v[6:7]
	s_wait_loadcnt 0x10
	s_delay_alu instid0(VALU_DEP_1) | instskip(SKIP_1) | instid1(VALU_DEP_1)
	v_fmac_f64_e32 v[2:3], v[30:31], v[32:33]
	s_wait_loadcnt 0xe
	v_fmac_f64_e32 v[2:3], v[34:35], v[36:37]
	s_wait_loadcnt 0xc
	s_delay_alu instid0(VALU_DEP_1) | instskip(SKIP_1) | instid1(VALU_DEP_1)
	v_fmac_f64_e32 v[2:3], v[38:39], v[40:41]
	;; [unrolled: 5-line block ×4, first 2 shown]
	s_wait_loadcnt 0x2
	v_fmac_f64_e32 v[2:3], v[20:21], v[22:23]
	s_wait_loadcnt 0x0
	s_delay_alu instid0(VALU_DEP_1)
	v_fmac_f64_e32 v[2:3], v[24:25], v[26:27]
	global_store_b64 v[0:1], v[2:3], off
.LBB0_2:
	s_endpgm
	.section	.rodata,"a",@progbits
	.p2align	6, 0x0
	.amdhsa_kernel _ZN8rajaperf4apps9matvec_3dILm256EEEvPdS2_S2_S2_S2_S2_S2_S2_S2_S2_S2_S2_S2_S2_S2_S2_S2_S2_S2_S2_S2_S2_S2_S2_S2_S2_S2_S2_S2_S2_S2_S2_S2_S2_S2_S2_S2_S2_S2_S2_S2_S2_S2_S2_S2_S2_S2_S2_S2_S2_S2_S2_S2_S2_S2_Plll
		.amdhsa_group_segment_fixed_size 0
		.amdhsa_private_segment_fixed_size 0
		.amdhsa_kernarg_size 720
		.amdhsa_user_sgpr_count 2
		.amdhsa_user_sgpr_dispatch_ptr 0
		.amdhsa_user_sgpr_queue_ptr 0
		.amdhsa_user_sgpr_kernarg_segment_ptr 1
		.amdhsa_user_sgpr_dispatch_id 0
		.amdhsa_user_sgpr_kernarg_preload_length 0
		.amdhsa_user_sgpr_kernarg_preload_offset 0
		.amdhsa_user_sgpr_private_segment_size 0
		.amdhsa_wavefront_size32 1
		.amdhsa_uses_dynamic_stack 0
		.amdhsa_enable_private_segment 0
		.amdhsa_system_sgpr_workgroup_id_x 1
		.amdhsa_system_sgpr_workgroup_id_y 0
		.amdhsa_system_sgpr_workgroup_id_z 0
		.amdhsa_system_sgpr_workgroup_info 0
		.amdhsa_system_vgpr_workitem_id 0
		.amdhsa_next_free_vgpr 52
		.amdhsa_next_free_sgpr 92
		.amdhsa_named_barrier_count 0
		.amdhsa_reserve_vcc 0
		.amdhsa_float_round_mode_32 0
		.amdhsa_float_round_mode_16_64 0
		.amdhsa_float_denorm_mode_32 3
		.amdhsa_float_denorm_mode_16_64 3
		.amdhsa_fp16_overflow 0
		.amdhsa_memory_ordered 1
		.amdhsa_forward_progress 1
		.amdhsa_inst_pref_size 12
		.amdhsa_round_robin_scheduling 0
		.amdhsa_exception_fp_ieee_invalid_op 0
		.amdhsa_exception_fp_denorm_src 0
		.amdhsa_exception_fp_ieee_div_zero 0
		.amdhsa_exception_fp_ieee_overflow 0
		.amdhsa_exception_fp_ieee_underflow 0
		.amdhsa_exception_fp_ieee_inexact 0
		.amdhsa_exception_int_div_zero 0
	.end_amdhsa_kernel
	.section	.text._ZN8rajaperf4apps9matvec_3dILm256EEEvPdS2_S2_S2_S2_S2_S2_S2_S2_S2_S2_S2_S2_S2_S2_S2_S2_S2_S2_S2_S2_S2_S2_S2_S2_S2_S2_S2_S2_S2_S2_S2_S2_S2_S2_S2_S2_S2_S2_S2_S2_S2_S2_S2_S2_S2_S2_S2_S2_S2_S2_S2_S2_S2_S2_Plll,"axG",@progbits,_ZN8rajaperf4apps9matvec_3dILm256EEEvPdS2_S2_S2_S2_S2_S2_S2_S2_S2_S2_S2_S2_S2_S2_S2_S2_S2_S2_S2_S2_S2_S2_S2_S2_S2_S2_S2_S2_S2_S2_S2_S2_S2_S2_S2_S2_S2_S2_S2_S2_S2_S2_S2_S2_S2_S2_S2_S2_S2_S2_S2_S2_S2_S2_Plll,comdat
.Lfunc_end0:
	.size	_ZN8rajaperf4apps9matvec_3dILm256EEEvPdS2_S2_S2_S2_S2_S2_S2_S2_S2_S2_S2_S2_S2_S2_S2_S2_S2_S2_S2_S2_S2_S2_S2_S2_S2_S2_S2_S2_S2_S2_S2_S2_S2_S2_S2_S2_S2_S2_S2_S2_S2_S2_S2_S2_S2_S2_S2_S2_S2_S2_S2_S2_S2_S2_Plll, .Lfunc_end0-_ZN8rajaperf4apps9matvec_3dILm256EEEvPdS2_S2_S2_S2_S2_S2_S2_S2_S2_S2_S2_S2_S2_S2_S2_S2_S2_S2_S2_S2_S2_S2_S2_S2_S2_S2_S2_S2_S2_S2_S2_S2_S2_S2_S2_S2_S2_S2_S2_S2_S2_S2_S2_S2_S2_S2_S2_S2_S2_S2_S2_S2_S2_S2_Plll
                                        ; -- End function
	.set _ZN8rajaperf4apps9matvec_3dILm256EEEvPdS2_S2_S2_S2_S2_S2_S2_S2_S2_S2_S2_S2_S2_S2_S2_S2_S2_S2_S2_S2_S2_S2_S2_S2_S2_S2_S2_S2_S2_S2_S2_S2_S2_S2_S2_S2_S2_S2_S2_S2_S2_S2_S2_S2_S2_S2_S2_S2_S2_S2_S2_S2_S2_S2_Plll.num_vgpr, 52
	.set _ZN8rajaperf4apps9matvec_3dILm256EEEvPdS2_S2_S2_S2_S2_S2_S2_S2_S2_S2_S2_S2_S2_S2_S2_S2_S2_S2_S2_S2_S2_S2_S2_S2_S2_S2_S2_S2_S2_S2_S2_S2_S2_S2_S2_S2_S2_S2_S2_S2_S2_S2_S2_S2_S2_S2_S2_S2_S2_S2_S2_S2_S2_S2_Plll.num_agpr, 0
	.set _ZN8rajaperf4apps9matvec_3dILm256EEEvPdS2_S2_S2_S2_S2_S2_S2_S2_S2_S2_S2_S2_S2_S2_S2_S2_S2_S2_S2_S2_S2_S2_S2_S2_S2_S2_S2_S2_S2_S2_S2_S2_S2_S2_S2_S2_S2_S2_S2_S2_S2_S2_S2_S2_S2_S2_S2_S2_S2_S2_S2_S2_S2_S2_Plll.numbered_sgpr, 92
	.set _ZN8rajaperf4apps9matvec_3dILm256EEEvPdS2_S2_S2_S2_S2_S2_S2_S2_S2_S2_S2_S2_S2_S2_S2_S2_S2_S2_S2_S2_S2_S2_S2_S2_S2_S2_S2_S2_S2_S2_S2_S2_S2_S2_S2_S2_S2_S2_S2_S2_S2_S2_S2_S2_S2_S2_S2_S2_S2_S2_S2_S2_S2_S2_Plll.num_named_barrier, 0
	.set _ZN8rajaperf4apps9matvec_3dILm256EEEvPdS2_S2_S2_S2_S2_S2_S2_S2_S2_S2_S2_S2_S2_S2_S2_S2_S2_S2_S2_S2_S2_S2_S2_S2_S2_S2_S2_S2_S2_S2_S2_S2_S2_S2_S2_S2_S2_S2_S2_S2_S2_S2_S2_S2_S2_S2_S2_S2_S2_S2_S2_S2_S2_S2_Plll.private_seg_size, 0
	.set _ZN8rajaperf4apps9matvec_3dILm256EEEvPdS2_S2_S2_S2_S2_S2_S2_S2_S2_S2_S2_S2_S2_S2_S2_S2_S2_S2_S2_S2_S2_S2_S2_S2_S2_S2_S2_S2_S2_S2_S2_S2_S2_S2_S2_S2_S2_S2_S2_S2_S2_S2_S2_S2_S2_S2_S2_S2_S2_S2_S2_S2_S2_S2_Plll.uses_vcc, 0
	.set _ZN8rajaperf4apps9matvec_3dILm256EEEvPdS2_S2_S2_S2_S2_S2_S2_S2_S2_S2_S2_S2_S2_S2_S2_S2_S2_S2_S2_S2_S2_S2_S2_S2_S2_S2_S2_S2_S2_S2_S2_S2_S2_S2_S2_S2_S2_S2_S2_S2_S2_S2_S2_S2_S2_S2_S2_S2_S2_S2_S2_S2_S2_S2_Plll.uses_flat_scratch, 0
	.set _ZN8rajaperf4apps9matvec_3dILm256EEEvPdS2_S2_S2_S2_S2_S2_S2_S2_S2_S2_S2_S2_S2_S2_S2_S2_S2_S2_S2_S2_S2_S2_S2_S2_S2_S2_S2_S2_S2_S2_S2_S2_S2_S2_S2_S2_S2_S2_S2_S2_S2_S2_S2_S2_S2_S2_S2_S2_S2_S2_S2_S2_S2_S2_Plll.has_dyn_sized_stack, 0
	.set _ZN8rajaperf4apps9matvec_3dILm256EEEvPdS2_S2_S2_S2_S2_S2_S2_S2_S2_S2_S2_S2_S2_S2_S2_S2_S2_S2_S2_S2_S2_S2_S2_S2_S2_S2_S2_S2_S2_S2_S2_S2_S2_S2_S2_S2_S2_S2_S2_S2_S2_S2_S2_S2_S2_S2_S2_S2_S2_S2_S2_S2_S2_S2_Plll.has_recursion, 0
	.set _ZN8rajaperf4apps9matvec_3dILm256EEEvPdS2_S2_S2_S2_S2_S2_S2_S2_S2_S2_S2_S2_S2_S2_S2_S2_S2_S2_S2_S2_S2_S2_S2_S2_S2_S2_S2_S2_S2_S2_S2_S2_S2_S2_S2_S2_S2_S2_S2_S2_S2_S2_S2_S2_S2_S2_S2_S2_S2_S2_S2_S2_S2_S2_Plll.has_indirect_call, 0
	.section	.AMDGPU.csdata,"",@progbits
; Kernel info:
; codeLenInByte = 1484
; TotalNumSgprs: 92
; NumVgprs: 52
; ScratchSize: 0
; MemoryBound: 1
; FloatMode: 240
; IeeeMode: 1
; LDSByteSize: 0 bytes/workgroup (compile time only)
; SGPRBlocks: 0
; VGPRBlocks: 3
; NumSGPRsForWavesPerEU: 92
; NumVGPRsForWavesPerEU: 52
; NamedBarCnt: 0
; Occupancy: 16
; WaveLimiterHint : 1
; COMPUTE_PGM_RSRC2:SCRATCH_EN: 0
; COMPUTE_PGM_RSRC2:USER_SGPR: 2
; COMPUTE_PGM_RSRC2:TRAP_HANDLER: 0
; COMPUTE_PGM_RSRC2:TGID_X_EN: 1
; COMPUTE_PGM_RSRC2:TGID_Y_EN: 0
; COMPUTE_PGM_RSRC2:TGID_Z_EN: 0
; COMPUTE_PGM_RSRC2:TIDIG_COMP_CNT: 0
	.section	.text._ZN4RAJA6policy3hip4impl18forallp_hip_kernelINS1_8hip_execINS_17iteration_mapping6DirectENS_3hip11IndexGlobalILNS_9named_dimE0ELi256ELi0EEENS7_40AvoidDeviceMaxThreadOccupancyConcretizerINS7_34FractionOffsetOccupancyConcretizerINS_8FractionImLm1ELm1EEELln1EEEEELb1EEEPlZN8rajaperf4apps17MATVEC_3D_STENCIL17runHipVariantImplILm256EEEvNSJ_9VariantIDEEUllE_lNS_4expt15ForallParamPackIJEEES6_SA_TnNSt9enable_ifIXaasr3std10is_base_ofINS5_10DirectBaseET4_EE5valuegtsrT5_10block_sizeLi0EEmE4typeELm256EEEvT1_T0_T2_T3_,"axG",@progbits,_ZN4RAJA6policy3hip4impl18forallp_hip_kernelINS1_8hip_execINS_17iteration_mapping6DirectENS_3hip11IndexGlobalILNS_9named_dimE0ELi256ELi0EEENS7_40AvoidDeviceMaxThreadOccupancyConcretizerINS7_34FractionOffsetOccupancyConcretizerINS_8FractionImLm1ELm1EEELln1EEEEELb1EEEPlZN8rajaperf4apps17MATVEC_3D_STENCIL17runHipVariantImplILm256EEEvNSJ_9VariantIDEEUllE_lNS_4expt15ForallParamPackIJEEES6_SA_TnNSt9enable_ifIXaasr3std10is_base_ofINS5_10DirectBaseET4_EE5valuegtsrT5_10block_sizeLi0EEmE4typeELm256EEEvT1_T0_T2_T3_,comdat
	.protected	_ZN4RAJA6policy3hip4impl18forallp_hip_kernelINS1_8hip_execINS_17iteration_mapping6DirectENS_3hip11IndexGlobalILNS_9named_dimE0ELi256ELi0EEENS7_40AvoidDeviceMaxThreadOccupancyConcretizerINS7_34FractionOffsetOccupancyConcretizerINS_8FractionImLm1ELm1EEELln1EEEEELb1EEEPlZN8rajaperf4apps17MATVEC_3D_STENCIL17runHipVariantImplILm256EEEvNSJ_9VariantIDEEUllE_lNS_4expt15ForallParamPackIJEEES6_SA_TnNSt9enable_ifIXaasr3std10is_base_ofINS5_10DirectBaseET4_EE5valuegtsrT5_10block_sizeLi0EEmE4typeELm256EEEvT1_T0_T2_T3_ ; -- Begin function _ZN4RAJA6policy3hip4impl18forallp_hip_kernelINS1_8hip_execINS_17iteration_mapping6DirectENS_3hip11IndexGlobalILNS_9named_dimE0ELi256ELi0EEENS7_40AvoidDeviceMaxThreadOccupancyConcretizerINS7_34FractionOffsetOccupancyConcretizerINS_8FractionImLm1ELm1EEELln1EEEEELb1EEEPlZN8rajaperf4apps17MATVEC_3D_STENCIL17runHipVariantImplILm256EEEvNSJ_9VariantIDEEUllE_lNS_4expt15ForallParamPackIJEEES6_SA_TnNSt9enable_ifIXaasr3std10is_base_ofINS5_10DirectBaseET4_EE5valuegtsrT5_10block_sizeLi0EEmE4typeELm256EEEvT1_T0_T2_T3_
	.globl	_ZN4RAJA6policy3hip4impl18forallp_hip_kernelINS1_8hip_execINS_17iteration_mapping6DirectENS_3hip11IndexGlobalILNS_9named_dimE0ELi256ELi0EEENS7_40AvoidDeviceMaxThreadOccupancyConcretizerINS7_34FractionOffsetOccupancyConcretizerINS_8FractionImLm1ELm1EEELln1EEEEELb1EEEPlZN8rajaperf4apps17MATVEC_3D_STENCIL17runHipVariantImplILm256EEEvNSJ_9VariantIDEEUllE_lNS_4expt15ForallParamPackIJEEES6_SA_TnNSt9enable_ifIXaasr3std10is_base_ofINS5_10DirectBaseET4_EE5valuegtsrT5_10block_sizeLi0EEmE4typeELm256EEEvT1_T0_T2_T3_
	.p2align	8
	.type	_ZN4RAJA6policy3hip4impl18forallp_hip_kernelINS1_8hip_execINS_17iteration_mapping6DirectENS_3hip11IndexGlobalILNS_9named_dimE0ELi256ELi0EEENS7_40AvoidDeviceMaxThreadOccupancyConcretizerINS7_34FractionOffsetOccupancyConcretizerINS_8FractionImLm1ELm1EEELln1EEEEELb1EEEPlZN8rajaperf4apps17MATVEC_3D_STENCIL17runHipVariantImplILm256EEEvNSJ_9VariantIDEEUllE_lNS_4expt15ForallParamPackIJEEES6_SA_TnNSt9enable_ifIXaasr3std10is_base_ofINS5_10DirectBaseET4_EE5valuegtsrT5_10block_sizeLi0EEmE4typeELm256EEEvT1_T0_T2_T3_,@function
_ZN4RAJA6policy3hip4impl18forallp_hip_kernelINS1_8hip_execINS_17iteration_mapping6DirectENS_3hip11IndexGlobalILNS_9named_dimE0ELi256ELi0EEENS7_40AvoidDeviceMaxThreadOccupancyConcretizerINS7_34FractionOffsetOccupancyConcretizerINS_8FractionImLm1ELm1EEELln1EEEEELb1EEEPlZN8rajaperf4apps17MATVEC_3D_STENCIL17runHipVariantImplILm256EEEvNSJ_9VariantIDEEUllE_lNS_4expt15ForallParamPackIJEEES6_SA_TnNSt9enable_ifIXaasr3std10is_base_ofINS5_10DirectBaseET4_EE5valuegtsrT5_10block_sizeLi0EEmE4typeELm256EEEvT1_T0_T2_T3_: ; @_ZN4RAJA6policy3hip4impl18forallp_hip_kernelINS1_8hip_execINS_17iteration_mapping6DirectENS_3hip11IndexGlobalILNS_9named_dimE0ELi256ELi0EEENS7_40AvoidDeviceMaxThreadOccupancyConcretizerINS7_34FractionOffsetOccupancyConcretizerINS_8FractionImLm1ELm1EEELln1EEEEELb1EEEPlZN8rajaperf4apps17MATVEC_3D_STENCIL17runHipVariantImplILm256EEEvNSJ_9VariantIDEEUllE_lNS_4expt15ForallParamPackIJEEES6_SA_TnNSt9enable_ifIXaasr3std10is_base_ofINS5_10DirectBaseET4_EE5valuegtsrT5_10block_sizeLi0EEmE4typeELm256EEEvT1_T0_T2_T3_
; %bb.0:
	s_load_b128 s[4:7], s[0:1], 0x1b8
	s_bfe_u32 s2, ttmp6, 0x4000c
	s_and_b32 s3, ttmp6, 15
	s_add_co_i32 s2, s2, 1
	s_getreg_b32 s8, hwreg(HW_REG_IB_STS2, 6, 4)
	s_mul_i32 s2, ttmp9, s2
	s_delay_alu instid0(SALU_CYCLE_1) | instskip(SKIP_3) | instid1(SALU_CYCLE_1)
	s_add_co_i32 s2, s3, s2
	s_cmp_eq_u32 s8, 0
	s_mov_b32 s3, 0
	s_cselect_b32 s2, ttmp9, s2
	s_lshl_b64 s[2:3], s[2:3], 8
	s_delay_alu instid0(SALU_CYCLE_1) | instskip(SKIP_2) | instid1(VALU_DEP_1)
	v_dual_mov_b32 v1, s3 :: v_dual_bitop2_b32 v0, s2, v0 bitop3:0x54
	s_mov_b32 s2, exec_lo
	s_wait_kmcnt 0x0
	v_cmpx_gt_i64_e64 s[6:7], v[0:1]
	s_cbranch_execz .LBB1_2
; %bb.1:
	v_lshl_add_u64 v[0:1], v[0:1], 3, s[4:5]
	s_clause 0x1
	s_load_b512 s[4:19], s[0:1], 0x0
	s_load_b512 s[36:51], s[0:1], 0x40
	global_load_b64 v[0:1], v[0:1], off
	s_wait_loadcnt 0x0
	v_lshlrev_b64_e32 v[0:1], 3, v[0:1]
	s_wait_kmcnt 0x0
	s_delay_alu instid0(VALU_DEP_1)
	v_add_nc_u64_e32 v[2:3], s[10:11], v[0:1]
	v_add_nc_u64_e32 v[4:5], s[12:13], v[0:1]
	global_load_b64 v[6:7], v[2:3], off
	global_load_b64 v[8:9], v[4:5], off
	s_wait_xcnt 0x1
	v_add_nc_u64_e32 v[2:3], s[6:7], v[0:1]
	s_wait_xcnt 0x0
	v_add_nc_u64_e32 v[4:5], s[8:9], v[0:1]
	global_load_b64 v[10:11], v[2:3], off
	global_load_b64 v[12:13], v[4:5], off
	s_wait_xcnt 0x1
	v_add_nc_u64_e32 v[2:3], s[14:15], v[0:1]
	s_wait_xcnt 0x0
	;; [unrolled: 6-line block ×3, first 2 shown]
	v_add_nc_u64_e32 v[4:5], s[36:37], v[0:1]
	s_load_b512 s[12:27], s[0:1], 0x80
	global_load_b64 v[18:19], v[2:3], off
	global_load_b64 v[20:21], v[4:5], off
	s_wait_xcnt 0x1
	v_add_nc_u64_e32 v[2:3], s[38:39], v[0:1]
	s_wait_xcnt 0x0
	v_add_nc_u64_e32 v[4:5], s[40:41], v[0:1]
	global_load_b64 v[22:23], v[2:3], off
	global_load_b64 v[24:25], v[4:5], off
	s_wait_xcnt 0x1
	v_add_nc_u64_e32 v[2:3], s[42:43], v[0:1]
	s_wait_xcnt 0x0
	v_add_nc_u64_e32 v[4:5], s[44:45], v[0:1]
	;; [unrolled: 6-line block ×3, first 2 shown]
	global_load_b64 v[30:31], v[2:3], off
	global_load_b64 v[32:33], v[4:5], off
	s_wait_xcnt 0x1
	v_add_nc_u64_e32 v[2:3], s[50:51], v[0:1]
	s_wait_kmcnt 0x0
	v_add_nc_u64_e32 v[4:5], s[12:13], v[0:1]
	global_load_b64 v[34:35], v[2:3], off
	global_load_b64 v[36:37], v[4:5], off
	s_wait_xcnt 0x1
	v_add_nc_u64_e32 v[2:3], s[14:15], v[0:1]
	s_wait_xcnt 0x0
	v_add_nc_u64_e32 v[4:5], s[16:17], v[0:1]
	global_load_b64 v[38:39], v[2:3], off
	global_load_b64 v[40:41], v[4:5], off
	s_wait_xcnt 0x1
	v_add_nc_u64_e32 v[2:3], s[18:19], v[0:1]
	s_wait_xcnt 0x0
	;; [unrolled: 6-line block ×3, first 2 shown]
	v_add_nc_u64_e32 v[4:5], s[24:25], v[0:1]
	global_load_b64 v[46:47], v[2:3], off
	global_load_b64 v[48:49], v[4:5], off
	s_load_b512 s[8:23], s[0:1], 0xc0
	v_add_nc_u64_e32 v[4:5], s[26:27], v[0:1]
	s_load_b512 s[36:51], s[0:1], 0x100
	s_wait_loadcnt 0x14
	v_mul_f64_e32 v[2:3], v[6:7], v[8:9]
	s_wait_kmcnt 0x0
	v_add_nc_u64_e32 v[6:7], s[8:9], v[0:1]
	global_load_b64 v[8:9], v[4:5], off
	global_load_b64 v[50:51], v[6:7], off
	s_wait_xcnt 0x1
	v_add_nc_u64_e32 v[4:5], s[10:11], v[0:1]
	s_wait_xcnt 0x0
	v_add_nc_u64_e32 v[6:7], s[12:13], v[0:1]
	s_wait_loadcnt 0x14
	v_fmac_f64_e32 v[2:3], v[10:11], v[12:13]
	global_load_b64 v[10:11], v[4:5], off
	global_load_b64 v[12:13], v[6:7], off
	s_wait_xcnt 0x1
	v_add_nc_u64_e32 v[4:5], s[14:15], v[0:1]
	s_wait_xcnt 0x0
	v_add_nc_u64_e32 v[6:7], s[16:17], v[0:1]
	s_wait_loadcnt 0x14
	v_fmac_f64_e32 v[2:3], v[14:15], v[16:17]
	global_load_b64 v[14:15], v[4:5], off
	global_load_b64 v[16:17], v[6:7], off
	s_wait_xcnt 0x1
	v_add_nc_u64_e32 v[4:5], s[18:19], v[0:1]
	s_wait_xcnt 0x0
	v_add_nc_u64_e32 v[6:7], s[20:21], v[0:1]
	s_wait_loadcnt 0x14
	v_fmac_f64_e32 v[2:3], v[18:19], v[20:21]
	global_load_b64 v[18:19], v[4:5], off
	global_load_b64 v[20:21], v[6:7], off
	s_wait_xcnt 0x1
	v_add_nc_u64_e32 v[4:5], s[22:23], v[0:1]
	s_wait_xcnt 0x0
	v_add_nc_u64_e32 v[6:7], s[36:37], v[0:1]
	s_load_b512 s[8:23], s[0:1], 0x140
	s_wait_loadcnt 0x14
	v_fmac_f64_e32 v[2:3], v[22:23], v[24:25]
	global_load_b64 v[22:23], v[4:5], off
	global_load_b64 v[24:25], v[6:7], off
	s_wait_xcnt 0x1
	v_add_nc_u64_e32 v[4:5], s[38:39], v[0:1]
	s_wait_xcnt 0x0
	v_add_nc_u64_e32 v[6:7], s[40:41], v[0:1]
	s_wait_loadcnt 0x14
	v_fmac_f64_e32 v[2:3], v[26:27], v[28:29]
	global_load_b64 v[26:27], v[4:5], off
	global_load_b64 v[28:29], v[6:7], off
	s_wait_xcnt 0x1
	v_add_nc_u64_e32 v[4:5], s[42:43], v[0:1]
	s_wait_xcnt 0x0
	v_add_nc_u64_e32 v[6:7], s[44:45], v[0:1]
	global_load_b64 v[4:5], v[4:5], off
	global_load_b64 v[6:7], v[6:7], off
	s_wait_loadcnt 0x16
	v_fmac_f64_e32 v[2:3], v[30:31], v[32:33]
	v_add_nc_u64_e32 v[30:31], s[46:47], v[0:1]
	v_add_nc_u64_e32 v[32:33], s[48:49], v[0:1]
	global_load_b64 v[30:31], v[30:31], off
	global_load_b64 v[32:33], v[32:33], off
	s_wait_loadcnt 0x16
	v_fmac_f64_e32 v[2:3], v[34:35], v[36:37]
	v_add_nc_u64_e32 v[34:35], s[50:51], v[0:1]
	s_wait_kmcnt 0x0
	v_add_nc_u64_e32 v[36:37], s[8:9], v[0:1]
	global_load_b64 v[34:35], v[34:35], off
	global_load_b64 v[36:37], v[36:37], off
	s_wait_loadcnt 0x16
	v_fmac_f64_e32 v[2:3], v[38:39], v[40:41]
	v_add_nc_u64_e32 v[38:39], s[10:11], v[0:1]
	v_add_nc_u64_e32 v[40:41], s[12:13], v[0:1]
	global_load_b64 v[38:39], v[38:39], off
	global_load_b64 v[40:41], v[40:41], off
	s_wait_loadcnt 0x16
	v_fmac_f64_e32 v[2:3], v[42:43], v[44:45]
	v_add_nc_u64_e32 v[42:43], s[14:15], v[0:1]
	v_add_nc_u64_e32 v[44:45], s[16:17], v[0:1]
	s_load_b256 s[8:15], s[0:1], 0x180
	global_load_b64 v[42:43], v[42:43], off
	s_wait_loadcnt 0x15
	v_fmac_f64_e32 v[2:3], v[46:47], v[48:49]
	v_add_nc_u64_e32 v[46:47], s[20:21], v[0:1]
	s_wait_loadcnt 0x13
	s_delay_alu instid0(VALU_DEP_2)
	v_fmac_f64_e32 v[2:3], v[8:9], v[50:51]
	global_load_b64 v[8:9], v[44:45], off
	s_wait_xcnt 0x0
	v_add_nc_u64_e32 v[44:45], s[18:19], v[0:1]
	global_load_b64 v[44:45], v[44:45], off
	s_wait_loadcnt 0x13
	v_fmac_f64_e32 v[2:3], v[10:11], v[12:13]
	global_load_b64 v[10:11], v[46:47], off
	v_add_nc_u64_e32 v[12:13], s[22:23], v[0:1]
	s_wait_kmcnt 0x0
	v_add_nc_u64_e32 v[46:47], s[8:9], v[0:1]
	global_load_b64 v[12:13], v[12:13], off
	s_wait_loadcnt 0x13
	v_fmac_f64_e32 v[2:3], v[14:15], v[16:17]
	global_load_b64 v[14:15], v[46:47], off
	v_add_nc_u64_e32 v[16:17], s[10:11], v[0:1]
	s_wait_xcnt 0x0
	v_add_nc_u64_e32 v[46:47], s[12:13], v[0:1]
	s_load_b128 s[8:11], s[0:1], 0x1a0
	global_load_b64 v[16:17], v[16:17], off
	s_load_b64 s[0:1], s[0:1], 0x1b0
	s_wait_loadcnt 0x13
	v_fmac_f64_e32 v[2:3], v[18:19], v[20:21]
	global_load_b64 v[18:19], v[46:47], off
	v_add_nc_u64_e32 v[20:21], s[14:15], v[0:1]
	s_wait_kmcnt 0x0
	v_add_nc_u64_e32 v[46:47], s[8:9], v[0:1]
	global_load_b64 v[20:21], v[20:21], off
	s_wait_loadcnt 0x13
	v_fmac_f64_e32 v[2:3], v[22:23], v[24:25]
	global_load_b64 v[22:23], v[46:47], off
	v_add_nc_u64_e32 v[24:25], s[10:11], v[0:1]
	s_wait_xcnt 0x0
	v_add_nc_u64_e32 v[46:47], s[0:1], v[0:1]
	v_add_nc_u64_e32 v[0:1], s[4:5], v[0:1]
	global_load_b64 v[24:25], v[24:25], off
	s_wait_loadcnt 0x13
	v_fmac_f64_e32 v[2:3], v[26:27], v[28:29]
	global_load_b64 v[26:27], v[46:47], off
	s_wait_loadcnt 0x12
	v_fmac_f64_e32 v[2:3], v[4:5], v[6:7]
	s_wait_loadcnt 0x10
	s_delay_alu instid0(VALU_DEP_1) | instskip(SKIP_1) | instid1(VALU_DEP_1)
	v_fmac_f64_e32 v[2:3], v[30:31], v[32:33]
	s_wait_loadcnt 0xe
	v_fmac_f64_e32 v[2:3], v[34:35], v[36:37]
	s_wait_loadcnt 0xc
	s_delay_alu instid0(VALU_DEP_1) | instskip(SKIP_1) | instid1(VALU_DEP_1)
	v_fmac_f64_e32 v[2:3], v[38:39], v[40:41]
	;; [unrolled: 5-line block ×4, first 2 shown]
	s_wait_loadcnt 0x2
	v_fmac_f64_e32 v[2:3], v[20:21], v[22:23]
	s_wait_loadcnt 0x0
	s_delay_alu instid0(VALU_DEP_1)
	v_fmac_f64_e32 v[2:3], v[24:25], v[26:27]
	global_store_b64 v[0:1], v[2:3], off
.LBB1_2:
	s_endpgm
	.section	.rodata,"a",@progbits
	.p2align	6, 0x0
	.amdhsa_kernel _ZN4RAJA6policy3hip4impl18forallp_hip_kernelINS1_8hip_execINS_17iteration_mapping6DirectENS_3hip11IndexGlobalILNS_9named_dimE0ELi256ELi0EEENS7_40AvoidDeviceMaxThreadOccupancyConcretizerINS7_34FractionOffsetOccupancyConcretizerINS_8FractionImLm1ELm1EEELln1EEEEELb1EEEPlZN8rajaperf4apps17MATVEC_3D_STENCIL17runHipVariantImplILm256EEEvNSJ_9VariantIDEEUllE_lNS_4expt15ForallParamPackIJEEES6_SA_TnNSt9enable_ifIXaasr3std10is_base_ofINS5_10DirectBaseET4_EE5valuegtsrT5_10block_sizeLi0EEmE4typeELm256EEEvT1_T0_T2_T3_
		.amdhsa_group_segment_fixed_size 0
		.amdhsa_private_segment_fixed_size 0
		.amdhsa_kernarg_size 460
		.amdhsa_user_sgpr_count 2
		.amdhsa_user_sgpr_dispatch_ptr 0
		.amdhsa_user_sgpr_queue_ptr 0
		.amdhsa_user_sgpr_kernarg_segment_ptr 1
		.amdhsa_user_sgpr_dispatch_id 0
		.amdhsa_user_sgpr_kernarg_preload_length 0
		.amdhsa_user_sgpr_kernarg_preload_offset 0
		.amdhsa_user_sgpr_private_segment_size 0
		.amdhsa_wavefront_size32 1
		.amdhsa_uses_dynamic_stack 0
		.amdhsa_enable_private_segment 0
		.amdhsa_system_sgpr_workgroup_id_x 1
		.amdhsa_system_sgpr_workgroup_id_y 0
		.amdhsa_system_sgpr_workgroup_id_z 0
		.amdhsa_system_sgpr_workgroup_info 0
		.amdhsa_system_vgpr_workitem_id 0
		.amdhsa_next_free_vgpr 52
		.amdhsa_next_free_sgpr 52
		.amdhsa_named_barrier_count 0
		.amdhsa_reserve_vcc 0
		.amdhsa_float_round_mode_32 0
		.amdhsa_float_round_mode_16_64 0
		.amdhsa_float_denorm_mode_32 3
		.amdhsa_float_denorm_mode_16_64 3
		.amdhsa_fp16_overflow 0
		.amdhsa_memory_ordered 1
		.amdhsa_forward_progress 1
		.amdhsa_inst_pref_size 12
		.amdhsa_round_robin_scheduling 0
		.amdhsa_exception_fp_ieee_invalid_op 0
		.amdhsa_exception_fp_denorm_src 0
		.amdhsa_exception_fp_ieee_div_zero 0
		.amdhsa_exception_fp_ieee_overflow 0
		.amdhsa_exception_fp_ieee_underflow 0
		.amdhsa_exception_fp_ieee_inexact 0
		.amdhsa_exception_int_div_zero 0
	.end_amdhsa_kernel
	.section	.text._ZN4RAJA6policy3hip4impl18forallp_hip_kernelINS1_8hip_execINS_17iteration_mapping6DirectENS_3hip11IndexGlobalILNS_9named_dimE0ELi256ELi0EEENS7_40AvoidDeviceMaxThreadOccupancyConcretizerINS7_34FractionOffsetOccupancyConcretizerINS_8FractionImLm1ELm1EEELln1EEEEELb1EEEPlZN8rajaperf4apps17MATVEC_3D_STENCIL17runHipVariantImplILm256EEEvNSJ_9VariantIDEEUllE_lNS_4expt15ForallParamPackIJEEES6_SA_TnNSt9enable_ifIXaasr3std10is_base_ofINS5_10DirectBaseET4_EE5valuegtsrT5_10block_sizeLi0EEmE4typeELm256EEEvT1_T0_T2_T3_,"axG",@progbits,_ZN4RAJA6policy3hip4impl18forallp_hip_kernelINS1_8hip_execINS_17iteration_mapping6DirectENS_3hip11IndexGlobalILNS_9named_dimE0ELi256ELi0EEENS7_40AvoidDeviceMaxThreadOccupancyConcretizerINS7_34FractionOffsetOccupancyConcretizerINS_8FractionImLm1ELm1EEELln1EEEEELb1EEEPlZN8rajaperf4apps17MATVEC_3D_STENCIL17runHipVariantImplILm256EEEvNSJ_9VariantIDEEUllE_lNS_4expt15ForallParamPackIJEEES6_SA_TnNSt9enable_ifIXaasr3std10is_base_ofINS5_10DirectBaseET4_EE5valuegtsrT5_10block_sizeLi0EEmE4typeELm256EEEvT1_T0_T2_T3_,comdat
.Lfunc_end1:
	.size	_ZN4RAJA6policy3hip4impl18forallp_hip_kernelINS1_8hip_execINS_17iteration_mapping6DirectENS_3hip11IndexGlobalILNS_9named_dimE0ELi256ELi0EEENS7_40AvoidDeviceMaxThreadOccupancyConcretizerINS7_34FractionOffsetOccupancyConcretizerINS_8FractionImLm1ELm1EEELln1EEEEELb1EEEPlZN8rajaperf4apps17MATVEC_3D_STENCIL17runHipVariantImplILm256EEEvNSJ_9VariantIDEEUllE_lNS_4expt15ForallParamPackIJEEES6_SA_TnNSt9enable_ifIXaasr3std10is_base_ofINS5_10DirectBaseET4_EE5valuegtsrT5_10block_sizeLi0EEmE4typeELm256EEEvT1_T0_T2_T3_, .Lfunc_end1-_ZN4RAJA6policy3hip4impl18forallp_hip_kernelINS1_8hip_execINS_17iteration_mapping6DirectENS_3hip11IndexGlobalILNS_9named_dimE0ELi256ELi0EEENS7_40AvoidDeviceMaxThreadOccupancyConcretizerINS7_34FractionOffsetOccupancyConcretizerINS_8FractionImLm1ELm1EEELln1EEEEELb1EEEPlZN8rajaperf4apps17MATVEC_3D_STENCIL17runHipVariantImplILm256EEEvNSJ_9VariantIDEEUllE_lNS_4expt15ForallParamPackIJEEES6_SA_TnNSt9enable_ifIXaasr3std10is_base_ofINS5_10DirectBaseET4_EE5valuegtsrT5_10block_sizeLi0EEmE4typeELm256EEEvT1_T0_T2_T3_
                                        ; -- End function
	.set _ZN4RAJA6policy3hip4impl18forallp_hip_kernelINS1_8hip_execINS_17iteration_mapping6DirectENS_3hip11IndexGlobalILNS_9named_dimE0ELi256ELi0EEENS7_40AvoidDeviceMaxThreadOccupancyConcretizerINS7_34FractionOffsetOccupancyConcretizerINS_8FractionImLm1ELm1EEELln1EEEEELb1EEEPlZN8rajaperf4apps17MATVEC_3D_STENCIL17runHipVariantImplILm256EEEvNSJ_9VariantIDEEUllE_lNS_4expt15ForallParamPackIJEEES6_SA_TnNSt9enable_ifIXaasr3std10is_base_ofINS5_10DirectBaseET4_EE5valuegtsrT5_10block_sizeLi0EEmE4typeELm256EEEvT1_T0_T2_T3_.num_vgpr, 52
	.set _ZN4RAJA6policy3hip4impl18forallp_hip_kernelINS1_8hip_execINS_17iteration_mapping6DirectENS_3hip11IndexGlobalILNS_9named_dimE0ELi256ELi0EEENS7_40AvoidDeviceMaxThreadOccupancyConcretizerINS7_34FractionOffsetOccupancyConcretizerINS_8FractionImLm1ELm1EEELln1EEEEELb1EEEPlZN8rajaperf4apps17MATVEC_3D_STENCIL17runHipVariantImplILm256EEEvNSJ_9VariantIDEEUllE_lNS_4expt15ForallParamPackIJEEES6_SA_TnNSt9enable_ifIXaasr3std10is_base_ofINS5_10DirectBaseET4_EE5valuegtsrT5_10block_sizeLi0EEmE4typeELm256EEEvT1_T0_T2_T3_.num_agpr, 0
	.set _ZN4RAJA6policy3hip4impl18forallp_hip_kernelINS1_8hip_execINS_17iteration_mapping6DirectENS_3hip11IndexGlobalILNS_9named_dimE0ELi256ELi0EEENS7_40AvoidDeviceMaxThreadOccupancyConcretizerINS7_34FractionOffsetOccupancyConcretizerINS_8FractionImLm1ELm1EEELln1EEEEELb1EEEPlZN8rajaperf4apps17MATVEC_3D_STENCIL17runHipVariantImplILm256EEEvNSJ_9VariantIDEEUllE_lNS_4expt15ForallParamPackIJEEES6_SA_TnNSt9enable_ifIXaasr3std10is_base_ofINS5_10DirectBaseET4_EE5valuegtsrT5_10block_sizeLi0EEmE4typeELm256EEEvT1_T0_T2_T3_.numbered_sgpr, 52
	.set _ZN4RAJA6policy3hip4impl18forallp_hip_kernelINS1_8hip_execINS_17iteration_mapping6DirectENS_3hip11IndexGlobalILNS_9named_dimE0ELi256ELi0EEENS7_40AvoidDeviceMaxThreadOccupancyConcretizerINS7_34FractionOffsetOccupancyConcretizerINS_8FractionImLm1ELm1EEELln1EEEEELb1EEEPlZN8rajaperf4apps17MATVEC_3D_STENCIL17runHipVariantImplILm256EEEvNSJ_9VariantIDEEUllE_lNS_4expt15ForallParamPackIJEEES6_SA_TnNSt9enable_ifIXaasr3std10is_base_ofINS5_10DirectBaseET4_EE5valuegtsrT5_10block_sizeLi0EEmE4typeELm256EEEvT1_T0_T2_T3_.num_named_barrier, 0
	.set _ZN4RAJA6policy3hip4impl18forallp_hip_kernelINS1_8hip_execINS_17iteration_mapping6DirectENS_3hip11IndexGlobalILNS_9named_dimE0ELi256ELi0EEENS7_40AvoidDeviceMaxThreadOccupancyConcretizerINS7_34FractionOffsetOccupancyConcretizerINS_8FractionImLm1ELm1EEELln1EEEEELb1EEEPlZN8rajaperf4apps17MATVEC_3D_STENCIL17runHipVariantImplILm256EEEvNSJ_9VariantIDEEUllE_lNS_4expt15ForallParamPackIJEEES6_SA_TnNSt9enable_ifIXaasr3std10is_base_ofINS5_10DirectBaseET4_EE5valuegtsrT5_10block_sizeLi0EEmE4typeELm256EEEvT1_T0_T2_T3_.private_seg_size, 0
	.set _ZN4RAJA6policy3hip4impl18forallp_hip_kernelINS1_8hip_execINS_17iteration_mapping6DirectENS_3hip11IndexGlobalILNS_9named_dimE0ELi256ELi0EEENS7_40AvoidDeviceMaxThreadOccupancyConcretizerINS7_34FractionOffsetOccupancyConcretizerINS_8FractionImLm1ELm1EEELln1EEEEELb1EEEPlZN8rajaperf4apps17MATVEC_3D_STENCIL17runHipVariantImplILm256EEEvNSJ_9VariantIDEEUllE_lNS_4expt15ForallParamPackIJEEES6_SA_TnNSt9enable_ifIXaasr3std10is_base_ofINS5_10DirectBaseET4_EE5valuegtsrT5_10block_sizeLi0EEmE4typeELm256EEEvT1_T0_T2_T3_.uses_vcc, 0
	.set _ZN4RAJA6policy3hip4impl18forallp_hip_kernelINS1_8hip_execINS_17iteration_mapping6DirectENS_3hip11IndexGlobalILNS_9named_dimE0ELi256ELi0EEENS7_40AvoidDeviceMaxThreadOccupancyConcretizerINS7_34FractionOffsetOccupancyConcretizerINS_8FractionImLm1ELm1EEELln1EEEEELb1EEEPlZN8rajaperf4apps17MATVEC_3D_STENCIL17runHipVariantImplILm256EEEvNSJ_9VariantIDEEUllE_lNS_4expt15ForallParamPackIJEEES6_SA_TnNSt9enable_ifIXaasr3std10is_base_ofINS5_10DirectBaseET4_EE5valuegtsrT5_10block_sizeLi0EEmE4typeELm256EEEvT1_T0_T2_T3_.uses_flat_scratch, 0
	.set _ZN4RAJA6policy3hip4impl18forallp_hip_kernelINS1_8hip_execINS_17iteration_mapping6DirectENS_3hip11IndexGlobalILNS_9named_dimE0ELi256ELi0EEENS7_40AvoidDeviceMaxThreadOccupancyConcretizerINS7_34FractionOffsetOccupancyConcretizerINS_8FractionImLm1ELm1EEELln1EEEEELb1EEEPlZN8rajaperf4apps17MATVEC_3D_STENCIL17runHipVariantImplILm256EEEvNSJ_9VariantIDEEUllE_lNS_4expt15ForallParamPackIJEEES6_SA_TnNSt9enable_ifIXaasr3std10is_base_ofINS5_10DirectBaseET4_EE5valuegtsrT5_10block_sizeLi0EEmE4typeELm256EEEvT1_T0_T2_T3_.has_dyn_sized_stack, 0
	.set _ZN4RAJA6policy3hip4impl18forallp_hip_kernelINS1_8hip_execINS_17iteration_mapping6DirectENS_3hip11IndexGlobalILNS_9named_dimE0ELi256ELi0EEENS7_40AvoidDeviceMaxThreadOccupancyConcretizerINS7_34FractionOffsetOccupancyConcretizerINS_8FractionImLm1ELm1EEELln1EEEEELb1EEEPlZN8rajaperf4apps17MATVEC_3D_STENCIL17runHipVariantImplILm256EEEvNSJ_9VariantIDEEUllE_lNS_4expt15ForallParamPackIJEEES6_SA_TnNSt9enable_ifIXaasr3std10is_base_ofINS5_10DirectBaseET4_EE5valuegtsrT5_10block_sizeLi0EEmE4typeELm256EEEvT1_T0_T2_T3_.has_recursion, 0
	.set _ZN4RAJA6policy3hip4impl18forallp_hip_kernelINS1_8hip_execINS_17iteration_mapping6DirectENS_3hip11IndexGlobalILNS_9named_dimE0ELi256ELi0EEENS7_40AvoidDeviceMaxThreadOccupancyConcretizerINS7_34FractionOffsetOccupancyConcretizerINS_8FractionImLm1ELm1EEELln1EEEEELb1EEEPlZN8rajaperf4apps17MATVEC_3D_STENCIL17runHipVariantImplILm256EEEvNSJ_9VariantIDEEUllE_lNS_4expt15ForallParamPackIJEEES6_SA_TnNSt9enable_ifIXaasr3std10is_base_ofINS5_10DirectBaseET4_EE5valuegtsrT5_10block_sizeLi0EEmE4typeELm256EEEvT1_T0_T2_T3_.has_indirect_call, 0
	.section	.AMDGPU.csdata,"",@progbits
; Kernel info:
; codeLenInByte = 1484
; TotalNumSgprs: 52
; NumVgprs: 52
; ScratchSize: 0
; MemoryBound: 0
; FloatMode: 240
; IeeeMode: 1
; LDSByteSize: 0 bytes/workgroup (compile time only)
; SGPRBlocks: 0
; VGPRBlocks: 3
; NumSGPRsForWavesPerEU: 52
; NumVGPRsForWavesPerEU: 52
; NamedBarCnt: 0
; Occupancy: 16
; WaveLimiterHint : 1
; COMPUTE_PGM_RSRC2:SCRATCH_EN: 0
; COMPUTE_PGM_RSRC2:USER_SGPR: 2
; COMPUTE_PGM_RSRC2:TRAP_HANDLER: 0
; COMPUTE_PGM_RSRC2:TGID_X_EN: 1
; COMPUTE_PGM_RSRC2:TGID_Y_EN: 0
; COMPUTE_PGM_RSRC2:TGID_Z_EN: 0
; COMPUTE_PGM_RSRC2:TIDIG_COMP_CNT: 0
	.section	.AMDGPU.gpr_maximums,"",@progbits
	.set amdgpu.max_num_vgpr, 0
	.set amdgpu.max_num_agpr, 0
	.set amdgpu.max_num_sgpr, 0
	.section	.AMDGPU.csdata,"",@progbits
	.type	__hip_cuid_55f4e36e5e565f81,@object ; @__hip_cuid_55f4e36e5e565f81
	.section	.bss,"aw",@nobits
	.globl	__hip_cuid_55f4e36e5e565f81
__hip_cuid_55f4e36e5e565f81:
	.byte	0                               ; 0x0
	.size	__hip_cuid_55f4e36e5e565f81, 1

	.ident	"AMD clang version 22.0.0git (https://github.com/RadeonOpenCompute/llvm-project roc-7.2.4 26084 f58b06dce1f9c15707c5f808fd002e18c2accf7e)"
	.section	".note.GNU-stack","",@progbits
	.addrsig
	.addrsig_sym __hip_cuid_55f4e36e5e565f81
	.amdgpu_metadata
---
amdhsa.kernels:
  - .args:
      - .address_space:  global
        .offset:         0
        .size:           8
        .value_kind:     global_buffer
      - .address_space:  global
        .offset:         8
        .size:           8
        .value_kind:     global_buffer
      - .address_space:  global
        .offset:         16
        .size:           8
        .value_kind:     global_buffer
      - .address_space:  global
        .offset:         24
        .size:           8
        .value_kind:     global_buffer
      - .address_space:  global
        .offset:         32
        .size:           8
        .value_kind:     global_buffer
      - .address_space:  global
        .offset:         40
        .size:           8
        .value_kind:     global_buffer
      - .address_space:  global
        .offset:         48
        .size:           8
        .value_kind:     global_buffer
      - .address_space:  global
        .offset:         56
        .size:           8
        .value_kind:     global_buffer
      - .address_space:  global
        .offset:         64
        .size:           8
        .value_kind:     global_buffer
      - .address_space:  global
        .offset:         72
        .size:           8
        .value_kind:     global_buffer
      - .address_space:  global
        .offset:         80
        .size:           8
        .value_kind:     global_buffer
      - .address_space:  global
        .offset:         88
        .size:           8
        .value_kind:     global_buffer
      - .address_space:  global
        .offset:         96
        .size:           8
        .value_kind:     global_buffer
      - .address_space:  global
        .offset:         104
        .size:           8
        .value_kind:     global_buffer
      - .address_space:  global
        .offset:         112
        .size:           8
        .value_kind:     global_buffer
      - .address_space:  global
        .offset:         120
        .size:           8
        .value_kind:     global_buffer
      - .address_space:  global
        .offset:         128
        .size:           8
        .value_kind:     global_buffer
      - .address_space:  global
        .offset:         136
        .size:           8
        .value_kind:     global_buffer
      - .address_space:  global
        .offset:         144
        .size:           8
        .value_kind:     global_buffer
      - .address_space:  global
        .offset:         152
        .size:           8
        .value_kind:     global_buffer
      - .address_space:  global
        .offset:         160
        .size:           8
        .value_kind:     global_buffer
      - .address_space:  global
        .offset:         168
        .size:           8
        .value_kind:     global_buffer
      - .address_space:  global
        .offset:         176
        .size:           8
        .value_kind:     global_buffer
      - .address_space:  global
        .offset:         184
        .size:           8
        .value_kind:     global_buffer
      - .address_space:  global
        .offset:         192
        .size:           8
        .value_kind:     global_buffer
      - .address_space:  global
        .offset:         200
        .size:           8
        .value_kind:     global_buffer
      - .address_space:  global
        .offset:         208
        .size:           8
        .value_kind:     global_buffer
      - .address_space:  global
        .offset:         216
        .size:           8
        .value_kind:     global_buffer
      - .address_space:  global
        .offset:         224
        .size:           8
        .value_kind:     global_buffer
      - .address_space:  global
        .offset:         232
        .size:           8
        .value_kind:     global_buffer
      - .address_space:  global
        .offset:         240
        .size:           8
        .value_kind:     global_buffer
      - .address_space:  global
        .offset:         248
        .size:           8
        .value_kind:     global_buffer
      - .address_space:  global
        .offset:         256
        .size:           8
        .value_kind:     global_buffer
      - .address_space:  global
        .offset:         264
        .size:           8
        .value_kind:     global_buffer
      - .address_space:  global
        .offset:         272
        .size:           8
        .value_kind:     global_buffer
      - .address_space:  global
        .offset:         280
        .size:           8
        .value_kind:     global_buffer
      - .address_space:  global
        .offset:         288
        .size:           8
        .value_kind:     global_buffer
      - .address_space:  global
        .offset:         296
        .size:           8
        .value_kind:     global_buffer
      - .address_space:  global
        .offset:         304
        .size:           8
        .value_kind:     global_buffer
      - .address_space:  global
        .offset:         312
        .size:           8
        .value_kind:     global_buffer
      - .address_space:  global
        .offset:         320
        .size:           8
        .value_kind:     global_buffer
      - .address_space:  global
        .offset:         328
        .size:           8
        .value_kind:     global_buffer
      - .address_space:  global
        .offset:         336
        .size:           8
        .value_kind:     global_buffer
      - .address_space:  global
        .offset:         344
        .size:           8
        .value_kind:     global_buffer
      - .address_space:  global
        .offset:         352
        .size:           8
        .value_kind:     global_buffer
      - .address_space:  global
        .offset:         360
        .size:           8
        .value_kind:     global_buffer
      - .address_space:  global
        .offset:         368
        .size:           8
        .value_kind:     global_buffer
      - .address_space:  global
        .offset:         376
        .size:           8
        .value_kind:     global_buffer
      - .address_space:  global
        .offset:         384
        .size:           8
        .value_kind:     global_buffer
      - .address_space:  global
        .offset:         392
        .size:           8
        .value_kind:     global_buffer
      - .address_space:  global
        .offset:         400
        .size:           8
        .value_kind:     global_buffer
      - .address_space:  global
        .offset:         408
        .size:           8
        .value_kind:     global_buffer
      - .address_space:  global
        .offset:         416
        .size:           8
        .value_kind:     global_buffer
      - .address_space:  global
        .offset:         424
        .size:           8
        .value_kind:     global_buffer
      - .address_space:  global
        .offset:         432
        .size:           8
        .value_kind:     global_buffer
      - .address_space:  global
        .offset:         440
        .size:           8
        .value_kind:     global_buffer
      - .offset:         448
        .size:           8
        .value_kind:     by_value
      - .offset:         456
        .size:           8
        .value_kind:     by_value
      - .offset:         464
        .size:           4
        .value_kind:     hidden_block_count_x
      - .offset:         468
        .size:           4
        .value_kind:     hidden_block_count_y
      - .offset:         472
        .size:           4
        .value_kind:     hidden_block_count_z
      - .offset:         476
        .size:           2
        .value_kind:     hidden_group_size_x
      - .offset:         478
        .size:           2
        .value_kind:     hidden_group_size_y
      - .offset:         480
        .size:           2
        .value_kind:     hidden_group_size_z
      - .offset:         482
        .size:           2
        .value_kind:     hidden_remainder_x
      - .offset:         484
        .size:           2
        .value_kind:     hidden_remainder_y
      - .offset:         486
        .size:           2
        .value_kind:     hidden_remainder_z
      - .offset:         504
        .size:           8
        .value_kind:     hidden_global_offset_x
      - .offset:         512
        .size:           8
        .value_kind:     hidden_global_offset_y
      - .offset:         520
        .size:           8
        .value_kind:     hidden_global_offset_z
      - .offset:         528
        .size:           2
        .value_kind:     hidden_grid_dims
    .group_segment_fixed_size: 0
    .kernarg_segment_align: 8
    .kernarg_segment_size: 720
    .language:       OpenCL C
    .language_version:
      - 2
      - 0
    .max_flat_workgroup_size: 256
    .name:           _ZN8rajaperf4apps9matvec_3dILm256EEEvPdS2_S2_S2_S2_S2_S2_S2_S2_S2_S2_S2_S2_S2_S2_S2_S2_S2_S2_S2_S2_S2_S2_S2_S2_S2_S2_S2_S2_S2_S2_S2_S2_S2_S2_S2_S2_S2_S2_S2_S2_S2_S2_S2_S2_S2_S2_S2_S2_S2_S2_S2_S2_S2_S2_Plll
    .private_segment_fixed_size: 0
    .sgpr_count:     92
    .sgpr_spill_count: 0
    .symbol:         _ZN8rajaperf4apps9matvec_3dILm256EEEvPdS2_S2_S2_S2_S2_S2_S2_S2_S2_S2_S2_S2_S2_S2_S2_S2_S2_S2_S2_S2_S2_S2_S2_S2_S2_S2_S2_S2_S2_S2_S2_S2_S2_S2_S2_S2_S2_S2_S2_S2_S2_S2_S2_S2_S2_S2_S2_S2_S2_S2_S2_S2_S2_S2_Plll.kd
    .uniform_work_group_size: 1
    .uses_dynamic_stack: false
    .vgpr_count:     52
    .vgpr_spill_count: 0
    .wavefront_size: 32
  - .args:
      - .offset:         0
        .size:           440
        .value_kind:     by_value
      - .address_space:  global
        .offset:         440
        .size:           8
        .value_kind:     global_buffer
      - .offset:         448
        .size:           8
        .value_kind:     by_value
      - .offset:         456
        .size:           1
        .value_kind:     by_value
    .group_segment_fixed_size: 0
    .kernarg_segment_align: 8
    .kernarg_segment_size: 460
    .language:       OpenCL C
    .language_version:
      - 2
      - 0
    .max_flat_workgroup_size: 256
    .name:           _ZN4RAJA6policy3hip4impl18forallp_hip_kernelINS1_8hip_execINS_17iteration_mapping6DirectENS_3hip11IndexGlobalILNS_9named_dimE0ELi256ELi0EEENS7_40AvoidDeviceMaxThreadOccupancyConcretizerINS7_34FractionOffsetOccupancyConcretizerINS_8FractionImLm1ELm1EEELln1EEEEELb1EEEPlZN8rajaperf4apps17MATVEC_3D_STENCIL17runHipVariantImplILm256EEEvNSJ_9VariantIDEEUllE_lNS_4expt15ForallParamPackIJEEES6_SA_TnNSt9enable_ifIXaasr3std10is_base_ofINS5_10DirectBaseET4_EE5valuegtsrT5_10block_sizeLi0EEmE4typeELm256EEEvT1_T0_T2_T3_
    .private_segment_fixed_size: 0
    .sgpr_count:     52
    .sgpr_spill_count: 0
    .symbol:         _ZN4RAJA6policy3hip4impl18forallp_hip_kernelINS1_8hip_execINS_17iteration_mapping6DirectENS_3hip11IndexGlobalILNS_9named_dimE0ELi256ELi0EEENS7_40AvoidDeviceMaxThreadOccupancyConcretizerINS7_34FractionOffsetOccupancyConcretizerINS_8FractionImLm1ELm1EEELln1EEEEELb1EEEPlZN8rajaperf4apps17MATVEC_3D_STENCIL17runHipVariantImplILm256EEEvNSJ_9VariantIDEEUllE_lNS_4expt15ForallParamPackIJEEES6_SA_TnNSt9enable_ifIXaasr3std10is_base_ofINS5_10DirectBaseET4_EE5valuegtsrT5_10block_sizeLi0EEmE4typeELm256EEEvT1_T0_T2_T3_.kd
    .uniform_work_group_size: 1
    .uses_dynamic_stack: false
    .vgpr_count:     52
    .vgpr_spill_count: 0
    .wavefront_size: 32
amdhsa.target:   amdgcn-amd-amdhsa--gfx1250
amdhsa.version:
  - 1
  - 2
...

	.end_amdgpu_metadata
